;; amdgpu-corpus repo=ROCm/rocFFT kind=compiled arch=gfx906 opt=O3
	.text
	.amdgcn_target "amdgcn-amd-amdhsa--gfx906"
	.amdhsa_code_object_version 6
	.protected	fft_rtc_back_len306_factors_17_2_9_wgs_238_tpt_34_halfLds_half_ip_CI_unitstride_sbrr_R2C_dirReg ; -- Begin function fft_rtc_back_len306_factors_17_2_9_wgs_238_tpt_34_halfLds_half_ip_CI_unitstride_sbrr_R2C_dirReg
	.globl	fft_rtc_back_len306_factors_17_2_9_wgs_238_tpt_34_halfLds_half_ip_CI_unitstride_sbrr_R2C_dirReg
	.p2align	8
	.type	fft_rtc_back_len306_factors_17_2_9_wgs_238_tpt_34_halfLds_half_ip_CI_unitstride_sbrr_R2C_dirReg,@function
fft_rtc_back_len306_factors_17_2_9_wgs_238_tpt_34_halfLds_half_ip_CI_unitstride_sbrr_R2C_dirReg: ; @fft_rtc_back_len306_factors_17_2_9_wgs_238_tpt_34_halfLds_half_ip_CI_unitstride_sbrr_R2C_dirReg
; %bb.0:
	s_load_dwordx2 s[12:13], s[4:5], 0x50
	s_load_dwordx4 s[8:11], s[4:5], 0x0
	s_load_dwordx2 s[2:3], s[4:5], 0x18
	v_mul_u32_u24_e32 v1, 0x788, v0
	v_lshrrev_b32_e32 v1, 16, v1
	v_mad_u64_u32 v[1:2], s[0:1], s6, 7, v[1:2]
	v_mov_b32_e32 v5, 0
	s_waitcnt lgkmcnt(0)
	v_cmp_lt_u64_e64 s[0:1], s[10:11], 2
	v_mov_b32_e32 v2, v5
	v_mov_b32_e32 v3, 0
	;; [unrolled: 1-line block ×3, first 2 shown]
	s_and_b64 vcc, exec, s[0:1]
	v_mov_b32_e32 v4, 0
	v_mov_b32_e32 v9, v1
	s_cbranch_vccnz .LBB0_8
; %bb.1:
	s_load_dwordx2 s[0:1], s[4:5], 0x10
	s_add_u32 s6, s2, 8
	s_addc_u32 s7, s3, 0
	v_mov_b32_e32 v3, 0
	v_mov_b32_e32 v8, v2
	s_waitcnt lgkmcnt(0)
	s_add_u32 s16, s0, 8
	s_mov_b64 s[14:15], 1
	v_mov_b32_e32 v4, 0
	s_addc_u32 s17, s1, 0
	v_mov_b32_e32 v7, v1
.LBB0_2:                                ; =>This Inner Loop Header: Depth=1
	s_load_dwordx2 s[18:19], s[16:17], 0x0
                                        ; implicit-def: $vgpr9_vgpr10
	s_waitcnt lgkmcnt(0)
	v_or_b32_e32 v6, s19, v8
	v_cmp_ne_u64_e32 vcc, 0, v[5:6]
	s_and_saveexec_b64 s[0:1], vcc
	s_xor_b64 s[20:21], exec, s[0:1]
	s_cbranch_execz .LBB0_4
; %bb.3:                                ;   in Loop: Header=BB0_2 Depth=1
	v_cvt_f32_u32_e32 v2, s18
	v_cvt_f32_u32_e32 v6, s19
	s_sub_u32 s0, 0, s18
	s_subb_u32 s1, 0, s19
	v_mac_f32_e32 v2, 0x4f800000, v6
	v_rcp_f32_e32 v2, v2
	v_mul_f32_e32 v2, 0x5f7ffffc, v2
	v_mul_f32_e32 v6, 0x2f800000, v2
	v_trunc_f32_e32 v6, v6
	v_mac_f32_e32 v2, 0xcf800000, v6
	v_cvt_u32_f32_e32 v6, v6
	v_cvt_u32_f32_e32 v2, v2
	v_mul_lo_u32 v9, s0, v6
	v_mul_hi_u32 v10, s0, v2
	v_mul_lo_u32 v12, s1, v2
	v_mul_lo_u32 v11, s0, v2
	v_add_u32_e32 v9, v10, v9
	v_add_u32_e32 v9, v9, v12
	v_mul_hi_u32 v10, v2, v11
	v_mul_lo_u32 v12, v2, v9
	v_mul_hi_u32 v14, v2, v9
	v_mul_hi_u32 v13, v6, v11
	v_mul_lo_u32 v11, v6, v11
	v_mul_hi_u32 v15, v6, v9
	v_add_co_u32_e32 v10, vcc, v10, v12
	v_addc_co_u32_e32 v12, vcc, 0, v14, vcc
	v_mul_lo_u32 v9, v6, v9
	v_add_co_u32_e32 v10, vcc, v10, v11
	v_addc_co_u32_e32 v10, vcc, v12, v13, vcc
	v_addc_co_u32_e32 v11, vcc, 0, v15, vcc
	v_add_co_u32_e32 v9, vcc, v10, v9
	v_addc_co_u32_e32 v10, vcc, 0, v11, vcc
	v_add_co_u32_e32 v2, vcc, v2, v9
	v_addc_co_u32_e32 v6, vcc, v6, v10, vcc
	v_mul_lo_u32 v9, s0, v6
	v_mul_hi_u32 v10, s0, v2
	v_mul_lo_u32 v11, s1, v2
	v_mul_lo_u32 v12, s0, v2
	v_add_u32_e32 v9, v10, v9
	v_add_u32_e32 v9, v9, v11
	v_mul_lo_u32 v13, v2, v9
	v_mul_hi_u32 v14, v2, v12
	v_mul_hi_u32 v15, v2, v9
	;; [unrolled: 1-line block ×3, first 2 shown]
	v_mul_lo_u32 v12, v6, v12
	v_mul_hi_u32 v10, v6, v9
	v_add_co_u32_e32 v13, vcc, v14, v13
	v_addc_co_u32_e32 v14, vcc, 0, v15, vcc
	v_mul_lo_u32 v9, v6, v9
	v_add_co_u32_e32 v12, vcc, v13, v12
	v_addc_co_u32_e32 v11, vcc, v14, v11, vcc
	v_addc_co_u32_e32 v10, vcc, 0, v10, vcc
	v_add_co_u32_e32 v9, vcc, v11, v9
	v_addc_co_u32_e32 v10, vcc, 0, v10, vcc
	v_add_co_u32_e32 v2, vcc, v2, v9
	v_addc_co_u32_e32 v6, vcc, v6, v10, vcc
	v_mad_u64_u32 v[9:10], s[0:1], v7, v6, 0
	v_mul_hi_u32 v11, v7, v2
	v_add_co_u32_e32 v13, vcc, v11, v9
	v_addc_co_u32_e32 v14, vcc, 0, v10, vcc
	v_mad_u64_u32 v[9:10], s[0:1], v8, v2, 0
	v_mad_u64_u32 v[11:12], s[0:1], v8, v6, 0
	v_add_co_u32_e32 v2, vcc, v13, v9
	v_addc_co_u32_e32 v2, vcc, v14, v10, vcc
	v_addc_co_u32_e32 v6, vcc, 0, v12, vcc
	v_add_co_u32_e32 v2, vcc, v2, v11
	v_addc_co_u32_e32 v6, vcc, 0, v6, vcc
	v_mul_lo_u32 v11, s19, v2
	v_mul_lo_u32 v12, s18, v6
	v_mad_u64_u32 v[9:10], s[0:1], s18, v2, 0
	v_add3_u32 v10, v10, v12, v11
	v_sub_u32_e32 v11, v8, v10
	v_mov_b32_e32 v12, s19
	v_sub_co_u32_e32 v9, vcc, v7, v9
	v_subb_co_u32_e64 v11, s[0:1], v11, v12, vcc
	v_subrev_co_u32_e64 v12, s[0:1], s18, v9
	v_subbrev_co_u32_e64 v11, s[0:1], 0, v11, s[0:1]
	v_cmp_le_u32_e64 s[0:1], s19, v11
	v_cndmask_b32_e64 v13, 0, -1, s[0:1]
	v_cmp_le_u32_e64 s[0:1], s18, v12
	v_cndmask_b32_e64 v12, 0, -1, s[0:1]
	v_cmp_eq_u32_e64 s[0:1], s19, v11
	v_cndmask_b32_e64 v11, v13, v12, s[0:1]
	v_add_co_u32_e64 v12, s[0:1], 2, v2
	v_addc_co_u32_e64 v13, s[0:1], 0, v6, s[0:1]
	v_add_co_u32_e64 v14, s[0:1], 1, v2
	v_addc_co_u32_e64 v15, s[0:1], 0, v6, s[0:1]
	v_subb_co_u32_e32 v10, vcc, v8, v10, vcc
	v_cmp_ne_u32_e64 s[0:1], 0, v11
	v_cmp_le_u32_e32 vcc, s19, v10
	v_cndmask_b32_e64 v11, v15, v13, s[0:1]
	v_cndmask_b32_e64 v13, 0, -1, vcc
	v_cmp_le_u32_e32 vcc, s18, v9
	v_cndmask_b32_e64 v9, 0, -1, vcc
	v_cmp_eq_u32_e32 vcc, s19, v10
	v_cndmask_b32_e32 v9, v13, v9, vcc
	v_cmp_ne_u32_e32 vcc, 0, v9
	v_cndmask_b32_e32 v10, v6, v11, vcc
	v_cndmask_b32_e64 v6, v14, v12, s[0:1]
	v_cndmask_b32_e32 v9, v2, v6, vcc
.LBB0_4:                                ;   in Loop: Header=BB0_2 Depth=1
	s_andn2_saveexec_b64 s[0:1], s[20:21]
	s_cbranch_execz .LBB0_6
; %bb.5:                                ;   in Loop: Header=BB0_2 Depth=1
	v_cvt_f32_u32_e32 v2, s18
	s_sub_i32 s20, 0, s18
	v_rcp_iflag_f32_e32 v2, v2
	v_mul_f32_e32 v2, 0x4f7ffffe, v2
	v_cvt_u32_f32_e32 v2, v2
	v_mul_lo_u32 v6, s20, v2
	v_mul_hi_u32 v6, v2, v6
	v_add_u32_e32 v2, v2, v6
	v_mul_hi_u32 v2, v7, v2
	v_mul_lo_u32 v6, v2, s18
	v_add_u32_e32 v9, 1, v2
	v_sub_u32_e32 v6, v7, v6
	v_subrev_u32_e32 v10, s18, v6
	v_cmp_le_u32_e32 vcc, s18, v6
	v_cndmask_b32_e32 v6, v6, v10, vcc
	v_cndmask_b32_e32 v2, v2, v9, vcc
	v_add_u32_e32 v9, 1, v2
	v_cmp_le_u32_e32 vcc, s18, v6
	v_cndmask_b32_e32 v9, v2, v9, vcc
	v_mov_b32_e32 v10, v5
.LBB0_6:                                ;   in Loop: Header=BB0_2 Depth=1
	s_or_b64 exec, exec, s[0:1]
	v_mul_lo_u32 v2, v10, s18
	v_mul_lo_u32 v6, v9, s19
	v_mad_u64_u32 v[11:12], s[0:1], v9, s18, 0
	s_load_dwordx2 s[0:1], s[6:7], 0x0
	s_add_u32 s14, s14, 1
	v_add3_u32 v2, v12, v6, v2
	v_sub_co_u32_e32 v6, vcc, v7, v11
	v_subb_co_u32_e32 v2, vcc, v8, v2, vcc
	s_waitcnt lgkmcnt(0)
	v_mul_lo_u32 v2, s0, v2
	v_mul_lo_u32 v7, s1, v6
	v_mad_u64_u32 v[3:4], s[0:1], s0, v6, v[3:4]
	s_addc_u32 s15, s15, 0
	s_add_u32 s6, s6, 8
	v_add3_u32 v4, v7, v4, v2
	v_mov_b32_e32 v6, s10
	v_mov_b32_e32 v7, s11
	s_addc_u32 s7, s7, 0
	v_cmp_ge_u64_e32 vcc, s[14:15], v[6:7]
	s_add_u32 s16, s16, 8
	s_addc_u32 s17, s17, 0
	s_cbranch_vccnz .LBB0_8
; %bb.7:                                ;   in Loop: Header=BB0_2 Depth=1
	v_mov_b32_e32 v7, v9
	v_mov_b32_e32 v8, v10
	s_branch .LBB0_2
.LBB0_8:
	s_lshl_b64 s[0:1], s[10:11], 3
	s_add_u32 s0, s2, s0
	s_addc_u32 s1, s3, s1
	s_load_dwordx2 s[2:3], s[0:1], 0x0
	s_load_dwordx2 s[6:7], s[4:5], 0x20
	s_mov_b32 s0, 0x24924925
	v_mul_hi_u32 v5, v1, s0
	s_waitcnt lgkmcnt(0)
	v_mad_u64_u32 v[2:3], s[0:1], s2, v9, v[3:4]
	v_sub_u32_e32 v4, v1, v5
	v_lshrrev_b32_e32 v4, 1, v4
	v_add_u32_e32 v4, v4, v5
	v_lshrrev_b32_e32 v4, 2, v4
	s_mov_b32 s0, 0x7878788
	v_mul_lo_u32 v6, s2, v10
	v_mul_lo_u32 v7, s3, v9
	;; [unrolled: 1-line block ×3, first 2 shown]
	v_mul_hi_u32 v5, v0, s0
	v_cmp_gt_u64_e32 vcc, s[6:7], v[9:10]
	v_add3_u32 v3, v7, v3, v6
	v_sub_u32_e32 v1, v1, v4
	v_mul_u32_u24_e32 v4, 34, v5
	v_mul_u32_u24_e32 v1, 0x133, v1
	v_sub_u32_e32 v0, v0, v4
	v_lshlrev_b64 v[2:3], 2, v[2:3]
	v_lshlrev_b32_e32 v25, 2, v1
	v_lshlrev_b32_e32 v23, 2, v0
	s_and_saveexec_b64 s[2:3], vcc
	s_cbranch_execz .LBB0_10
; %bb.9:
	v_mov_b32_e32 v1, 0
	v_mov_b32_e32 v4, s13
	v_add_co_u32_e64 v6, s[0:1], s12, v2
	v_addc_co_u32_e64 v7, s[0:1], v4, v3, s[0:1]
	v_lshlrev_b64 v[4:5], 2, v[0:1]
	v_add_co_u32_e64 v4, s[0:1], v6, v4
	v_addc_co_u32_e64 v5, s[0:1], v7, v5, s[0:1]
	global_load_dword v1, v[4:5], off
	global_load_dword v6, v[4:5], off offset:136
	global_load_dword v7, v[4:5], off offset:272
	;; [unrolled: 1-line block ×8, first 2 shown]
	v_add3_u32 v4, 0, v25, v23
	s_waitcnt vmcnt(7)
	ds_write2_b32 v4, v1, v6 offset1:34
	s_waitcnt vmcnt(5)
	ds_write2_b32 v4, v7, v8 offset0:68 offset1:102
	s_waitcnt vmcnt(3)
	ds_write2_b32 v4, v9, v10 offset0:136 offset1:170
	;; [unrolled: 2-line block ×3, first 2 shown]
	s_waitcnt vmcnt(0)
	ds_write_b32 v4, v13 offset:1088
.LBB0_10:
	s_or_b64 exec, exec, s[2:3]
	v_add3_u32 v24, 0, v23, v25
	v_add_u32_e32 v1, 0x400, v24
	s_waitcnt lgkmcnt(0)
	s_barrier
	ds_read2_b32 v[18:19], v24 offset0:18 offset1:36
	ds_read2_b32 v[6:7], v1 offset0:14 offset1:32
	v_add_u32_e32 v1, 0, v25
	v_add_u32_e32 v22, v1, v23
	ds_read_b32 v27, v22
	s_mov_b32 s5, 0xb1e1
	s_waitcnt lgkmcnt(1)
	v_pk_add_f16 v30, v18, v7 neg_lo:[0,1] neg_hi:[0,1]
	v_pk_add_f16 v28, v7, v18
	v_pk_mul_f16 v4, v30, s5 op_sel_hi:[1,0]
	s_mov_b32 s4, 0xbbdd
	v_pk_add_f16 v31, v19, v6 neg_lo:[0,1] neg_hi:[0,1]
	s_movk_i32 s14, 0x35c8
	v_pk_fma_f16 v5, v28, s4, v4 op_sel:[0,0,1] op_sel_hi:[1,0,0]
	v_pk_add_f16 v29, v6, v19
	v_pk_mul_f16 v10, v31, s14 op_sel_hi:[1,0]
	s_movk_i32 s6, 0x3b76
	s_waitcnt lgkmcnt(0)
	v_pk_add_f16 v5, v27, v5
	v_pk_fma_f16 v8, v29, s6, v10 op_sel:[0,0,1] op_sel_hi:[1,0,0]
	v_pk_add_f16 v5, v8, v5
	ds_read2_b32 v[20:21], v24 offset0:54 offset1:72
	ds_read2_b32 v[8:9], v24 offset0:234 offset1:252
	v_pk_fma_f16 v4, v28, s4, v4 op_sel:[0,0,1] op_sel_hi:[1,0,0] neg_lo:[0,0,1] neg_hi:[0,0,1]
	v_pk_add_f16 v4, v27, v4
	v_pk_fma_f16 v10, v29, s6, v10 op_sel:[0,0,1] op_sel_hi:[1,0,0] neg_lo:[0,0,1] neg_hi:[0,0,1]
	s_mov_b32 s10, 0xb836
	s_waitcnt lgkmcnt(0)
	v_pk_add_f16 v34, v20, v9 neg_lo:[0,1] neg_hi:[0,1]
	v_pk_add_f16 v4, v10, v4
	s_mov_b32 s7, 0xbacd
	v_pk_add_f16 v32, v9, v20
	v_pk_mul_f16 v10, v34, s10 op_sel_hi:[1,0]
	s_movk_i32 s22, 0x3964
	v_pk_add_f16 v36, v21, v8 neg_lo:[0,1] neg_hi:[0,1]
	v_pk_fma_f16 v11, v32, s7, v10 op_sel:[0,0,1] op_sel_hi:[1,0,0]
	v_pk_fma_f16 v10, v32, s7, v10 op_sel:[0,0,1] op_sel_hi:[1,0,0] neg_lo:[0,0,1] neg_hi:[0,0,1]
	s_movk_i32 s11, 0x39e9
	v_pk_add_f16 v33, v8, v21
	v_pk_mul_f16 v12, v36, s22 op_sel_hi:[1,0]
	v_pk_add_f16 v5, v11, v5
	v_pk_add_f16 v4, v10, v4
	v_pk_fma_f16 v10, v33, s11, v12 op_sel:[0,0,1] op_sel_hi:[1,0,0]
	v_pk_add_f16 v5, v10, v5
	ds_read2_b32 v[14:15], v24 offset0:90 offset1:108
	ds_read2_b32 v[10:11], v24 offset0:198 offset1:216
	v_pk_fma_f16 v12, v33, s11, v12 op_sel:[0,0,1] op_sel_hi:[1,0,0] neg_lo:[0,0,1] neg_hi:[0,0,1]
	s_mov_b32 s16, 0xba62
	v_pk_add_f16 v4, v12, v4
	s_mov_b32 s15, 0xb8d2
	s_waitcnt lgkmcnt(0)
	v_pk_add_f16 v38, v14, v11 neg_lo:[0,1] neg_hi:[0,1]
	v_pk_add_f16 v35, v11, v14
	v_pk_mul_f16 v12, v38, s16 op_sel_hi:[1,0]
	s_movk_i32 s21, 0x3b29
	v_pk_add_f16 v40, v15, v10 neg_lo:[0,1] neg_hi:[0,1]
	v_pk_fma_f16 v13, v35, s15, v12 op_sel:[0,0,1] op_sel_hi:[1,0,0]
	v_pk_fma_f16 v12, v35, s15, v12 op_sel:[0,0,1] op_sel_hi:[1,0,0] neg_lo:[0,0,1] neg_hi:[0,0,1]
	s_movk_i32 s17, 0x3722
	v_pk_add_f16 v37, v10, v15
	v_pk_mul_f16 v26, v40, s21 op_sel_hi:[1,0]
	v_pk_add_f16 v5, v13, v5
	v_pk_add_f16 v4, v12, v4
	v_pk_fma_f16 v12, v37, s17, v26 op_sel:[0,0,1] op_sel_hi:[1,0,0]
	v_pk_add_f16 v5, v12, v5
	ds_read2_b32 v[16:17], v24 offset0:126 offset1:144
	ds_read2_b32 v[12:13], v24 offset0:162 offset1:180
	v_pk_fma_f16 v26, v37, s17, v26 op_sel:[0,0,1] op_sel_hi:[1,0,0] neg_lo:[0,0,1] neg_hi:[0,0,1]
	s_mov_b32 s20, 0xbbb2
	v_pk_add_f16 v4, v26, v4
	s_mov_b32 s18, 0xb461
	s_waitcnt lgkmcnt(0)
	v_pk_add_f16 v42, v16, v13 neg_lo:[0,1] neg_hi:[0,1]
	v_pk_add_f16 v39, v13, v16
	v_pk_mul_f16 v26, v42, s20 op_sel_hi:[1,0]
	v_pk_fma_f16 v41, v39, s18, v26 op_sel:[0,0,1] op_sel_hi:[1,0,0]
	s_movk_i32 s23, 0x3bf7
	v_pk_add_f16 v43, v17, v12 neg_lo:[0,1] neg_hi:[0,1]
	v_pk_add_f16 v5, v41, v5
	v_pk_fma_f16 v26, v39, s18, v26 op_sel:[0,0,1] op_sel_hi:[1,0,0] neg_lo:[0,0,1] neg_hi:[0,0,1]
	s_movk_i32 s19, 0x2de8
	v_pk_add_f16 v41, v12, v17
	v_pk_mul_f16 v44, v43, s23 op_sel_hi:[1,0]
	v_pk_add_f16 v26, v26, v4
	v_pk_fma_f16 v4, v41, s19, v44 op_sel:[0,0,1] op_sel_hi:[1,0,0]
	v_pk_add_f16 v4, v4, v5
	v_pk_fma_f16 v5, v41, s19, v44 op_sel:[0,0,1] op_sel_hi:[1,0,0] neg_lo:[0,0,1] neg_hi:[0,0,1]
	v_pk_add_f16 v5, v5, v26
	v_cmp_gt_u32_e64 s[0:1], 18, v0
	v_lshrrev_b32_e32 v26, 16, v4
	s_barrier
	s_and_saveexec_b64 s[2:3], s[0:1]
	s_cbranch_execz .LBB0_12
; %bb.11:
	v_mul_f16_sdwa v44, v28, s7 dst_sel:DWORD dst_unused:UNUSED_PAD src0_sel:WORD_1 src1_sel:DWORD
	s_movk_i32 s1, 0x3836
	v_fma_f16 v45, v30, s1, v44
	v_add_f16_sdwa v46, v27, v45 dst_sel:DWORD dst_unused:UNUSED_PAD src0_sel:WORD_1 src1_sel:DWORD
	v_mul_f16_sdwa v45, v29, s17 dst_sel:DWORD dst_unused:UNUSED_PAD src0_sel:WORD_1 src1_sel:DWORD
	s_mov_b32 s0, 0xbb29
	v_fma_f16 v47, v31, s0, v45
	v_add_f16_e32 v47, v47, v46
	v_mul_f16_sdwa v46, v32, s19 dst_sel:DWORD dst_unused:UNUSED_PAD src0_sel:WORD_1 src1_sel:DWORD
	v_fma_f16 v48, v34, s23, v46
	v_pk_add_f16 v18, v27, v18
	v_add_f16_e32 v47, v48, v47
	v_pk_add_f16 v48, v18, v19
	v_mul_f16_sdwa v18, v33, s15 dst_sel:DWORD dst_unused:UNUSED_PAD src0_sel:WORD_1 src1_sel:DWORD
	v_fma_f16 v19, v36, s16, v18
	v_add_f16_e32 v47, v19, v47
	v_mul_f16_sdwa v19, v35, s6 dst_sel:DWORD dst_unused:UNUSED_PAD src0_sel:WORD_1 src1_sel:DWORD
	v_pk_add_f16 v20, v48, v20
	v_fma_f16 v49, v38, s14, v19
	v_pk_add_f16 v48, v20, v21
	v_mul_f16_sdwa v20, v37, s4 dst_sel:DWORD dst_unused:UNUSED_PAD src0_sel:WORD_1 src1_sel:DWORD
	s_movk_i32 s25, 0x31e1
	v_add_f16_e32 v47, v49, v47
	v_fma_f16 v21, v40, s25, v20
	v_add_f16_e32 v47, v21, v47
	v_mul_f16_sdwa v21, v39, s11 dst_sel:DWORD dst_unused:UNUSED_PAD src0_sel:WORD_1 src1_sel:DWORD
	s_mov_b32 s24, 0xb964
	v_fma_f16 v49, v42, s24, v21
	v_pk_add_f16 v14, v48, v14
	v_mul_f16_sdwa v48, v41, s18 dst_sel:DWORD dst_unused:UNUSED_PAD src0_sel:WORD_1 src1_sel:DWORD
	s_movk_i32 s28, 0x3bb2
	v_add_f16_e32 v47, v49, v47
	v_pk_add_f16 v15, v14, v15
	v_fma_f16 v14, v43, s28, v48
	v_add_f16_e32 v14, v14, v47
	v_mul_f16_sdwa v47, v30, s10 dst_sel:DWORD dst_unused:UNUSED_PAD src0_sel:WORD_1 src1_sel:DWORD
	v_pk_add_f16 v15, v15, v16
	v_pk_add_f16 v15, v15, v17
	v_fma_f16 v16, v28, s7, v47
	v_mul_f16_sdwa v17, v31, s21 dst_sel:DWORD dst_unused:UNUSED_PAD src0_sel:WORD_1 src1_sel:DWORD
	v_add_f16_e32 v16, v27, v16
	v_fma_f16 v49, v29, s17, v17
	s_mov_b32 s26, 0xbbf7
	v_add_f16_e32 v16, v49, v16
	v_mul_f16_sdwa v49, v34, s26 dst_sel:DWORD dst_unused:UNUSED_PAD src0_sel:WORD_1 src1_sel:DWORD
	v_fma_f16 v50, v32, s19, v49
	s_movk_i32 s29, 0x3a62
	v_add_f16_e32 v16, v50, v16
	v_mul_f16_sdwa v50, v36, s29 dst_sel:DWORD dst_unused:UNUSED_PAD src0_sel:WORD_1 src1_sel:DWORD
	v_fma_f16 v51, v33, s15, v50
	s_mov_b32 s27, 0xb5c8
	v_add_f16_e32 v16, v51, v16
	v_mul_f16_sdwa v51, v38, s27 dst_sel:DWORD dst_unused:UNUSED_PAD src0_sel:WORD_1 src1_sel:DWORD
	v_fma_f16 v52, v35, s6, v51
	v_add_f16_e32 v16, v52, v16
	v_mul_f16_sdwa v52, v40, s5 dst_sel:DWORD dst_unused:UNUSED_PAD src0_sel:WORD_1 src1_sel:DWORD
	v_fma_f16 v53, v37, s4, v52
	v_add_f16_e32 v16, v53, v16
	v_mul_f16_sdwa v53, v42, s22 dst_sel:DWORD dst_unused:UNUSED_PAD src0_sel:WORD_1 src1_sel:DWORD
	v_fma_f16 v54, v39, s11, v53
	v_add_f16_e32 v16, v54, v16
	v_mul_f16_sdwa v54, v43, s20 dst_sel:DWORD dst_unused:UNUSED_PAD src0_sel:WORD_1 src1_sel:DWORD
	v_fma_f16 v55, v41, s18, v54
	v_add_f16_e32 v16, v55, v16
	v_mul_f16_sdwa v55, v28, s15 dst_sel:DWORD dst_unused:UNUSED_PAD src0_sel:WORD_1 src1_sel:DWORD
	v_fma_f16 v56, v30, s29, v55
	v_mul_f16_sdwa v57, v29, s18 dst_sel:DWORD dst_unused:UNUSED_PAD src0_sel:WORD_1 src1_sel:DWORD
	v_add_f16_sdwa v56, v27, v56 dst_sel:DWORD dst_unused:UNUSED_PAD src0_sel:WORD_1 src1_sel:DWORD
	v_fma_f16 v58, v31, s20, v57
	v_add_f16_e32 v56, v58, v56
	v_mul_f16_sdwa v58, v32, s6 dst_sel:DWORD dst_unused:UNUSED_PAD src0_sel:WORD_1 src1_sel:DWORD
	v_fma_f16 v59, v34, s14, v58
	v_add_f16_e32 v56, v59, v56
	v_mul_f16_sdwa v59, v33, s7 dst_sel:DWORD dst_unused:UNUSED_PAD src0_sel:WORD_1 src1_sel:DWORD
	v_fma_f16 v60, v36, s1, v59
	v_add_f16_e32 v56, v60, v56
	v_mul_f16_sdwa v60, v35, s19 dst_sel:DWORD dst_unused:UNUSED_PAD src0_sel:WORD_1 src1_sel:DWORD
	v_fma_f16 v61, v38, s26, v60
	v_add_f16_e32 v56, v61, v56
	v_mul_f16_sdwa v61, v37, s11 dst_sel:DWORD dst_unused:UNUSED_PAD src0_sel:WORD_1 src1_sel:DWORD
	v_fma_f16 v62, v40, s22, v61
	v_add_f16_e32 v56, v62, v56
	v_mul_f16_sdwa v62, v39, s4 dst_sel:DWORD dst_unused:UNUSED_PAD src0_sel:WORD_1 src1_sel:DWORD
	v_fma_f16 v63, v42, s25, v62
	v_add_f16_e32 v56, v63, v56
	v_mul_f16_sdwa v63, v41, s17 dst_sel:DWORD dst_unused:UNUSED_PAD src0_sel:WORD_1 src1_sel:DWORD
	v_fma_f16 v64, v43, s0, v63
	v_add_f16_e32 v56, v64, v56
	v_mul_f16_sdwa v64, v30, s16 dst_sel:DWORD dst_unused:UNUSED_PAD src0_sel:WORD_1 src1_sel:DWORD
	v_fma_f16 v65, v28, s15, v64
	v_mul_f16_sdwa v66, v31, s28 dst_sel:DWORD dst_unused:UNUSED_PAD src0_sel:WORD_1 src1_sel:DWORD
	v_add_f16_e32 v65, v27, v65
	v_fma_f16 v67, v29, s18, v66
	v_add_f16_e32 v65, v67, v65
	v_mul_f16_sdwa v67, v34, s27 dst_sel:DWORD dst_unused:UNUSED_PAD src0_sel:WORD_1 src1_sel:DWORD
	v_fma_f16 v68, v32, s6, v67
	v_add_f16_e32 v65, v68, v65
	v_mul_f16_sdwa v68, v36, s10 dst_sel:DWORD dst_unused:UNUSED_PAD src0_sel:WORD_1 src1_sel:DWORD
	v_fma_f16 v69, v33, s7, v68
	v_add_f16_e32 v65, v69, v65
	v_mul_f16_sdwa v69, v38, s23 dst_sel:DWORD dst_unused:UNUSED_PAD src0_sel:WORD_1 src1_sel:DWORD
	v_fma_f16 v70, v35, s19, v69
	v_add_f16_e32 v65, v70, v65
	v_mul_f16_sdwa v70, v40, s24 dst_sel:DWORD dst_unused:UNUSED_PAD src0_sel:WORD_1 src1_sel:DWORD
	v_fma_f16 v71, v37, s11, v70
	v_add_f16_e32 v65, v71, v65
	v_mul_f16_sdwa v71, v42, s5 dst_sel:DWORD dst_unused:UNUSED_PAD src0_sel:WORD_1 src1_sel:DWORD
	v_fma_f16 v72, v39, s4, v71
	v_add_f16_e32 v65, v72, v65
	v_mul_f16_sdwa v72, v43, s21 dst_sel:DWORD dst_unused:UNUSED_PAD src0_sel:WORD_1 src1_sel:DWORD
	v_fma_f16 v73, v41, s17, v72
	v_add_f16_e32 v65, v73, v65
	v_mul_f16_sdwa v73, v28, s18 dst_sel:DWORD dst_unused:UNUSED_PAD src0_sel:WORD_1 src1_sel:DWORD
	v_fma_f16 v74, v30, s28, v73
	v_mul_f16_sdwa v75, v29, s7 dst_sel:DWORD dst_unused:UNUSED_PAD src0_sel:WORD_1 src1_sel:DWORD
	v_add_f16_sdwa v74, v27, v74 dst_sel:DWORD dst_unused:UNUSED_PAD src0_sel:WORD_1 src1_sel:DWORD
	v_fma_f16 v76, v31, s10, v75
	v_add_f16_e32 v74, v76, v74
	v_mul_f16_sdwa v76, v32, s11 dst_sel:DWORD dst_unused:UNUSED_PAD src0_sel:WORD_1 src1_sel:DWORD
	v_fma_f16 v77, v34, s24, v76
	v_add_f16_e32 v74, v77, v74
	v_mul_f16_sdwa v77, v33, s17 dst_sel:DWORD dst_unused:UNUSED_PAD src0_sel:WORD_1 src1_sel:DWORD
	v_fma_f16 v78, v36, s21, v77
	v_add_f16_e32 v74, v78, v74
	v_mul_f16_sdwa v78, v35, s4 dst_sel:DWORD dst_unused:UNUSED_PAD src0_sel:WORD_1 src1_sel:DWORD
	v_fma_f16 v79, v38, s25, v78
	v_add_f16_e32 v74, v79, v74
	v_mul_f16_sdwa v79, v37, s19 dst_sel:DWORD dst_unused:UNUSED_PAD src0_sel:WORD_1 src1_sel:DWORD
	v_fma_f16 v80, v40, s26, v79
	v_add_f16_e32 v74, v80, v74
	v_mul_f16_sdwa v80, v39, s6 dst_sel:DWORD dst_unused:UNUSED_PAD src0_sel:WORD_1 src1_sel:DWORD
	v_fma_f16 v81, v42, s14, v80
	v_add_f16_e32 v74, v81, v74
	v_mul_f16_sdwa v81, v41, s15 dst_sel:DWORD dst_unused:UNUSED_PAD src0_sel:WORD_1 src1_sel:DWORD
	v_fma_f16 v82, v43, s29, v81
	v_add_f16_e32 v74, v82, v74
	v_mul_f16_sdwa v82, v30, s20 dst_sel:DWORD dst_unused:UNUSED_PAD src0_sel:WORD_1 src1_sel:DWORD
	v_fma_f16 v83, v28, s18, v82
	v_mul_f16_sdwa v84, v31, s1 dst_sel:DWORD dst_unused:UNUSED_PAD src0_sel:WORD_1 src1_sel:DWORD
	v_add_f16_e32 v83, v27, v83
	v_fma_f16 v85, v29, s7, v84
	v_add_f16_e32 v83, v85, v83
	v_mul_f16_sdwa v85, v34, s22 dst_sel:DWORD dst_unused:UNUSED_PAD src0_sel:WORD_1 src1_sel:DWORD
	v_fma_f16 v86, v32, s11, v85
	v_add_f16_e32 v83, v86, v83
	v_mul_f16_sdwa v86, v36, s0 dst_sel:DWORD dst_unused:UNUSED_PAD src0_sel:WORD_1 src1_sel:DWORD
	v_fma_f16 v87, v33, s17, v86
	;; [unrolled: 48-line block ×3, first 2 shown]
	v_add_f16_e32 v101, v105, v101
	v_mul_f16_sdwa v105, v38, s0 dst_sel:DWORD dst_unused:UNUSED_PAD src0_sel:WORD_1 src1_sel:DWORD
	v_fma_f16 v106, v35, s17, v105
	v_add_f16_e32 v101, v106, v101
	v_mul_f16_sdwa v106, v40, s10 dst_sel:DWORD dst_unused:UNUSED_PAD src0_sel:WORD_1 src1_sel:DWORD
	v_fma_f16 v44, v30, s10, v44
	v_fma_f16 v107, v37, s7, v106
	v_add_f16_sdwa v44, v27, v44 dst_sel:DWORD dst_unused:UNUSED_PAD src0_sel:WORD_1 src1_sel:DWORD
	v_fma_f16 v45, v31, s21, v45
	v_add_f16_e32 v101, v107, v101
	v_mul_f16_sdwa v107, v42, s29 dst_sel:DWORD dst_unused:UNUSED_PAD src0_sel:WORD_1 src1_sel:DWORD
	v_add_f16_e32 v44, v45, v44
	v_fma_f16 v45, v34, s26, v46
	v_fma_f16 v108, v39, s15, v107
	v_add_f16_e32 v44, v45, v44
	v_fma_f16 v18, v36, s29, v18
	v_add_f16_e32 v101, v108, v101
	v_mul_f16_sdwa v108, v43, s22 dst_sel:DWORD dst_unused:UNUSED_PAD src0_sel:WORD_1 src1_sel:DWORD
	v_add_f16_e32 v18, v18, v44
	v_fma_f16 v19, v38, s27, v19
	v_fma_f16 v109, v41, s11, v108
	v_add_f16_e32 v18, v19, v18
	v_fma_f16 v19, v40, s5, v20
	v_add_f16_e32 v101, v109, v101
	v_mul_f16_sdwa v109, v28, s17 dst_sel:DWORD dst_unused:UNUSED_PAD src0_sel:WORD_1 src1_sel:DWORD
	v_add_f16_e32 v18, v19, v18
	v_fma_f16 v19, v42, s22, v21
	v_fma_f16 v110, v30, s21, v109
	v_mul_f16_sdwa v111, v29, s15 dst_sel:DWORD dst_unused:UNUSED_PAD src0_sel:WORD_1 src1_sel:DWORD
	v_add_f16_e32 v18, v19, v18
	v_fma_f16 v19, v43, s20, v48
	v_add_f16_sdwa v110, v27, v110 dst_sel:DWORD dst_unused:UNUSED_PAD src0_sel:WORD_1 src1_sel:DWORD
	v_fma_f16 v112, v31, s29, v111
	v_add_f16_e32 v18, v19, v18
	v_fma_f16 v19, v28, s7, -v47
	v_add_f16_e32 v110, v112, v110
	v_mul_f16_sdwa v112, v32, s4 dst_sel:DWORD dst_unused:UNUSED_PAD src0_sel:WORD_1 src1_sel:DWORD
	v_add_f16_e32 v19, v27, v19
	v_fma_f16 v17, v29, s17, -v17
	v_fma_f16 v113, v34, s5, v112
	v_add_f16_e32 v17, v17, v19
	v_fma_f16 v19, v32, s19, -v49
	v_add_f16_e32 v110, v113, v110
	v_mul_f16_sdwa v113, v33, s18 dst_sel:DWORD dst_unused:UNUSED_PAD src0_sel:WORD_1 src1_sel:DWORD
	v_add_f16_e32 v17, v19, v17
	v_fma_f16 v19, v33, s15, -v50
	;; [unrolled: 7-line block ×4, first 2 shown]
	v_fma_f16 v116, v40, s14, v115
	v_add_f16_e32 v17, v19, v17
	v_fma_f16 v19, v30, s16, v55
	v_add_f16_e32 v110, v116, v110
	v_mul_f16_sdwa v116, v39, s19 dst_sel:DWORD dst_unused:UNUSED_PAD src0_sel:WORD_1 src1_sel:DWORD
	v_add_f16_sdwa v19, v27, v19 dst_sel:DWORD dst_unused:UNUSED_PAD src0_sel:WORD_1 src1_sel:DWORD
	v_fma_f16 v20, v31, s28, v57
	v_fma_f16 v117, v42, s23, v116
	v_add_f16_e32 v19, v20, v19
	v_fma_f16 v20, v34, s27, v58
	v_add_f16_e32 v110, v117, v110
	v_mul_f16_sdwa v117, v41, s7 dst_sel:DWORD dst_unused:UNUSED_PAD src0_sel:WORD_1 src1_sel:DWORD
	v_add_f16_e32 v19, v20, v19
	v_fma_f16 v20, v36, s10, v59
	v_fma_f16 v118, v43, s1, v117
	v_add_f16_e32 v19, v20, v19
	v_fma_f16 v20, v38, s23, v60
	v_add_f16_e32 v110, v118, v110
	v_mul_f16_sdwa v118, v30, s0 dst_sel:DWORD dst_unused:UNUSED_PAD src0_sel:WORD_1 src1_sel:DWORD
	v_add_f16_e32 v19, v20, v19
	v_fma_f16 v20, v40, s24, v61
	v_fma_f16 v119, v28, s17, v118
	v_mul_f16_sdwa v120, v31, s16 dst_sel:DWORD dst_unused:UNUSED_PAD src0_sel:WORD_1 src1_sel:DWORD
	v_add_f16_e32 v19, v20, v19
	v_fma_f16 v20, v42, s5, v62
	v_add_f16_e32 v119, v27, v119
	v_fma_f16 v121, v29, s15, v120
	;; [unrolled: 2-line block ×3, first 2 shown]
	v_add_f16_e32 v119, v121, v119
	v_mul_f16_sdwa v121, v34, s25 dst_sel:DWORD dst_unused:UNUSED_PAD src0_sel:WORD_1 src1_sel:DWORD
	v_add_f16_e32 v19, v20, v19
	v_fma_f16 v20, v28, s15, -v64
	v_fma_f16 v122, v32, s4, v121
	v_add_f16_e32 v20, v27, v20
	v_fma_f16 v21, v29, s18, -v66
	v_add_f16_e32 v119, v122, v119
	v_mul_f16_sdwa v122, v36, s28 dst_sel:DWORD dst_unused:UNUSED_PAD src0_sel:WORD_1 src1_sel:DWORD
	v_add_f16_e32 v20, v21, v20
	v_fma_f16 v21, v32, s6, -v67
	v_fma_f16 v123, v33, s18, v122
	v_add_f16_e32 v20, v21, v20
	v_fma_f16 v21, v33, s7, -v68
	;; [unrolled: 7-line block ×4, first 2 shown]
	v_add_f16_e32 v119, v125, v119
	v_mul_f16_sdwa v125, v42, s26 dst_sel:DWORD dst_unused:UNUSED_PAD src0_sel:WORD_1 src1_sel:DWORD
	v_add_f16_e32 v20, v21, v20
	v_fma_f16 v21, v30, s20, v73
	v_fma_f16 v126, v39, s19, v125
	v_add_f16_sdwa v21, v27, v21 dst_sel:DWORD dst_unused:UNUSED_PAD src0_sel:WORD_1 src1_sel:DWORD
	v_fma_f16 v44, v31, s1, v75
	v_add_f16_e32 v119, v126, v119
	v_mul_f16_sdwa v126, v43, s10 dst_sel:DWORD dst_unused:UNUSED_PAD src0_sel:WORD_1 src1_sel:DWORD
	v_add_f16_e32 v21, v44, v21
	v_fma_f16 v44, v34, s22, v76
	v_fma_f16 v127, v41, s7, v126
	v_add_f16_e32 v21, v44, v21
	v_fma_f16 v44, v36, s0, v77
	v_add_f16_e32 v119, v127, v119
	v_mul_f16_sdwa v127, v28, s11 dst_sel:DWORD dst_unused:UNUSED_PAD src0_sel:WORD_1 src1_sel:DWORD
	v_add_f16_e32 v21, v44, v21
	v_fma_f16 v44, v38, s5, v78
	v_fma_f16 v128, v30, s22, v127
	v_mul_f16_sdwa v129, v29, s19 dst_sel:DWORD dst_unused:UNUSED_PAD src0_sel:WORD_1 src1_sel:DWORD
	v_add_f16_e32 v21, v44, v21
	v_fma_f16 v44, v40, s23, v79
	v_add_f16_sdwa v128, v27, v128 dst_sel:DWORD dst_unused:UNUSED_PAD src0_sel:WORD_1 src1_sel:DWORD
	v_fma_f16 v130, v31, s23, v129
	v_add_f16_e32 v21, v44, v21
	v_fma_f16 v44, v42, s27, v80
	v_add_f16_e32 v128, v130, v128
	v_mul_f16_sdwa v130, v32, s15 dst_sel:DWORD dst_unused:UNUSED_PAD src0_sel:WORD_1 src1_sel:DWORD
	v_add_f16_e32 v21, v44, v21
	v_fma_f16 v44, v43, s16, v81
	v_fma_f16 v131, v34, s29, v130
	v_add_f16_e32 v21, v44, v21
	v_fma_f16 v44, v28, s18, -v82
	v_add_f16_e32 v128, v131, v128
	v_mul_f16_sdwa v131, v33, s4 dst_sel:DWORD dst_unused:UNUSED_PAD src0_sel:WORD_1 src1_sel:DWORD
	v_add_f16_e32 v44, v27, v44
	v_fma_f16 v45, v29, s7, -v84
	v_fma_f16 v132, v36, s25, v131
	v_add_f16_e32 v44, v45, v44
	v_fma_f16 v45, v32, s11, -v85
	v_add_f16_e32 v128, v132, v128
	v_mul_f16_sdwa v132, v35, s7 dst_sel:DWORD dst_unused:UNUSED_PAD src0_sel:WORD_1 src1_sel:DWORD
	v_add_f16_e32 v44, v45, v44
	v_fma_f16 v45, v33, s17, -v86
	;; [unrolled: 7-line block ×4, first 2 shown]
	v_fma_f16 v135, v42, s0, v134
	v_add_f16_e32 v44, v45, v44
	v_fma_f16 v45, v30, s26, v91
	v_add_f16_e32 v128, v135, v128
	v_mul_f16_sdwa v135, v41, s6 dst_sel:DWORD dst_unused:UNUSED_PAD src0_sel:WORD_1 src1_sel:DWORD
	v_add_f16_sdwa v45, v27, v45 dst_sel:DWORD dst_unused:UNUSED_PAD src0_sel:WORD_1 src1_sel:DWORD
	v_fma_f16 v46, v31, s5, v93
	v_fma_f16 v136, v43, s27, v135
	v_add_f16_e32 v45, v46, v45
	v_fma_f16 v46, v34, s28, v94
	v_add_f16_e32 v128, v136, v128
	v_mul_f16_sdwa v136, v30, s24 dst_sel:DWORD dst_unused:UNUSED_PAD src0_sel:WORD_1 src1_sel:DWORD
	v_add_f16_e32 v45, v46, v45
	v_fma_f16 v46, v36, s14, v95
	v_fma_f16 v137, v28, s11, v136
	v_mul_f16_sdwa v138, v31, s26 dst_sel:DWORD dst_unused:UNUSED_PAD src0_sel:WORD_1 src1_sel:DWORD
	v_add_f16_e32 v45, v46, v45
	v_fma_f16 v46, v38, s0, v96
	v_add_f16_e32 v137, v27, v137
	v_fma_f16 v139, v29, s19, v138
	;; [unrolled: 2-line block ×3, first 2 shown]
	v_add_f16_e32 v137, v139, v137
	v_mul_f16_sdwa v139, v34, s16 dst_sel:DWORD dst_unused:UNUSED_PAD src0_sel:WORD_1 src1_sel:DWORD
	v_add_f16_e32 v45, v46, v45
	v_fma_f16 v46, v42, s29, v98
	v_fma_f16 v140, v32, s15, v139
	v_add_f16_e32 v45, v46, v45
	v_fma_f16 v46, v43, s22, v99
	v_add_f16_e32 v137, v140, v137
	v_mul_f16_sdwa v140, v36, s5 dst_sel:DWORD dst_unused:UNUSED_PAD src0_sel:WORD_1 src1_sel:DWORD
	v_add_f16_e32 v45, v46, v45
	v_fma_f16 v46, v28, s19, -v100
	v_fma_f16 v141, v33, s4, v140
	v_add_f16_e32 v46, v27, v46
	v_fma_f16 v47, v29, s4, -v102
	v_add_f16_e32 v137, v141, v137
	v_mul_f16_sdwa v141, v38, s1 dst_sel:DWORD dst_unused:UNUSED_PAD src0_sel:WORD_1 src1_sel:DWORD
	v_add_f16_e32 v46, v47, v46
	v_fma_f16 v47, v32, s18, -v103
	v_fma_f16 v142, v35, s7, v141
	v_add_f16_e32 v46, v47, v46
	v_fma_f16 v47, v33, s6, -v104
	;; [unrolled: 7-line block ×4, first 2 shown]
	v_add_f16_e32 v137, v144, v137
	v_mul_f16_sdwa v144, v43, s14 dst_sel:DWORD dst_unused:UNUSED_PAD src0_sel:WORD_1 src1_sel:DWORD
	v_add_f16_e32 v46, v47, v46
	v_fma_f16 v47, v30, s0, v109
	v_fma_f16 v145, v41, s6, v144
	v_add_f16_sdwa v47, v27, v47 dst_sel:DWORD dst_unused:UNUSED_PAD src0_sel:WORD_1 src1_sel:DWORD
	v_fma_f16 v48, v31, s16, v111
	v_add_f16_e32 v137, v145, v137
	v_mul_f16_sdwa v145, v28, s6 dst_sel:DWORD dst_unused:UNUSED_PAD src0_sel:WORD_1 src1_sel:DWORD
	v_add_f16_e32 v47, v48, v47
	v_fma_f16 v48, v34, s25, v112
	v_fma_f16 v146, v30, s14, v145
	v_mul_f16_sdwa v147, v29, s11 dst_sel:DWORD dst_unused:UNUSED_PAD src0_sel:WORD_1 src1_sel:DWORD
	v_add_f16_e32 v47, v48, v47
	v_fma_f16 v48, v36, s28, v113
	v_add_f16_sdwa v146, v27, v146 dst_sel:DWORD dst_unused:UNUSED_PAD src0_sel:WORD_1 src1_sel:DWORD
	v_fma_f16 v148, v31, s22, v147
	v_add_f16_e32 v47, v48, v47
	v_fma_f16 v48, v38, s22, v114
	v_add_f16_e32 v146, v148, v146
	v_mul_f16_sdwa v148, v32, s17 dst_sel:DWORD dst_unused:UNUSED_PAD src0_sel:WORD_1 src1_sel:DWORD
	v_add_f16_e32 v47, v48, v47
	v_fma_f16 v48, v40, s27, v115
	v_fma_f16 v149, v34, s21, v148
	v_add_f16_e32 v47, v48, v47
	v_fma_f16 v48, v42, s26, v116
	v_add_f16_e32 v146, v149, v146
	v_mul_f16_sdwa v149, v33, s19 dst_sel:DWORD dst_unused:UNUSED_PAD src0_sel:WORD_1 src1_sel:DWORD
	v_add_f16_e32 v47, v48, v47
	v_fma_f16 v48, v43, s10, v117
	v_fma_f16 v150, v36, s23, v149
	v_add_f16_e32 v47, v48, v47
	v_fma_f16 v48, v28, s17, -v118
	v_add_f16_e32 v146, v150, v146
	v_mul_f16_sdwa v150, v35, s18 dst_sel:DWORD dst_unused:UNUSED_PAD src0_sel:WORD_1 src1_sel:DWORD
	v_add_f16_e32 v48, v27, v48
	v_fma_f16 v49, v29, s15, -v120
	v_fma_f16 v151, v38, s28, v150
	v_add_f16_e32 v48, v49, v48
	v_fma_f16 v49, v32, s4, -v121
	v_add_f16_e32 v146, v151, v146
	v_mul_f16_sdwa v151, v37, s15 dst_sel:DWORD dst_unused:UNUSED_PAD src0_sel:WORD_1 src1_sel:DWORD
	v_add_f16_e32 v48, v49, v48
	v_fma_f16 v49, v33, s18, -v122
	v_fma_f16 v152, v40, s29, v151
	v_add_f16_e32 v48, v49, v48
	v_fma_f16 v49, v35, s11, -v123
	v_add_f16_e32 v146, v152, v146
	v_mul_f16_sdwa v152, v39, s7 dst_sel:DWORD dst_unused:UNUSED_PAD src0_sel:WORD_1 src1_sel:DWORD
	v_add_f16_e32 v48, v49, v48
	v_fma_f16 v49, v37, s6, -v124
	v_fma_f16 v153, v42, s1, v152
	v_add_f16_e32 v48, v49, v48
	v_fma_f16 v49, v39, s19, -v125
	v_add_f16_e32 v146, v153, v146
	v_mul_f16_sdwa v153, v41, s4 dst_sel:DWORD dst_unused:UNUSED_PAD src0_sel:WORD_1 src1_sel:DWORD
	v_add_f16_e32 v48, v49, v48
	v_fma_f16 v49, v41, s7, -v126
	v_fma_f16 v154, v43, s25, v153
	v_add_f16_e32 v48, v49, v48
	v_fma_f16 v49, v30, s24, v127
	v_add_f16_e32 v146, v154, v146
	v_mul_f16_sdwa v154, v30, s27 dst_sel:DWORD dst_unused:UNUSED_PAD src0_sel:WORD_1 src1_sel:DWORD
	v_add_f16_sdwa v49, v27, v49 dst_sel:DWORD dst_unused:UNUSED_PAD src0_sel:WORD_1 src1_sel:DWORD
	v_fma_f16 v50, v31, s26, v129
	v_fma_f16 v155, v28, s6, v154
	v_mul_f16_sdwa v156, v31, s24 dst_sel:DWORD dst_unused:UNUSED_PAD src0_sel:WORD_1 src1_sel:DWORD
	v_add_f16_e32 v49, v50, v49
	v_fma_f16 v50, v34, s16, v130
	v_add_f16_e32 v155, v27, v155
	v_fma_f16 v157, v29, s11, v156
	;; [unrolled: 2-line block ×3, first 2 shown]
	v_add_f16_e32 v155, v157, v155
	v_mul_f16_sdwa v157, v34, s0 dst_sel:DWORD dst_unused:UNUSED_PAD src0_sel:WORD_1 src1_sel:DWORD
	v_add_f16_e32 v49, v50, v49
	v_fma_f16 v50, v38, s1, v132
	v_fma_f16 v158, v32, s17, v157
	v_add_f16_e32 v49, v50, v49
	v_fma_f16 v50, v40, s28, v133
	v_add_f16_e32 v155, v158, v155
	v_mul_f16_sdwa v158, v36, s26 dst_sel:DWORD dst_unused:UNUSED_PAD src0_sel:WORD_1 src1_sel:DWORD
	v_add_f16_e32 v49, v50, v49
	v_fma_f16 v50, v42, s21, v134
	v_fma_f16 v159, v33, s19, v158
	v_add_f16_e32 v49, v50, v49
	v_fma_f16 v50, v43, s14, v135
	v_add_f16_e32 v155, v159, v155
	v_mul_f16_sdwa v159, v38, s20 dst_sel:DWORD dst_unused:UNUSED_PAD src0_sel:WORD_1 src1_sel:DWORD
	v_add_f16_e32 v49, v50, v49
	v_fma_f16 v50, v28, s11, -v136
	v_fma_f16 v30, v30, s27, v145
	v_fma_f16 v28, v28, s6, -v154
	v_fma_f16 v160, v35, s18, v159
	v_add_f16_e32 v50, v27, v50
	v_add_f16_sdwa v30, v27, v30 dst_sel:DWORD dst_unused:UNUSED_PAD src0_sel:WORD_1 src1_sel:DWORD
	v_add_f16_e32 v27, v27, v28
	v_fma_f16 v28, v29, s11, -v156
	v_add_f16_e32 v155, v160, v155
	v_mul_f16_sdwa v160, v40, s16 dst_sel:DWORD dst_unused:UNUSED_PAD src0_sel:WORD_1 src1_sel:DWORD
	v_add_f16_e32 v27, v28, v27
	v_fma_f16 v28, v32, s17, -v157
	v_pk_add_f16 v12, v15, v12
	v_fma_f16 v161, v37, s15, v160
	v_add_f16_e32 v27, v28, v27
	v_fma_f16 v28, v33, s19, -v158
	v_pk_add_f16 v12, v12, v13
	v_add_f16_e32 v155, v161, v155
	v_mul_f16_sdwa v161, v42, s10 dst_sel:DWORD dst_unused:UNUSED_PAD src0_sel:WORD_1 src1_sel:DWORD
	v_add_f16_e32 v27, v28, v27
	v_fma_f16 v28, v35, s18, -v159
	v_pk_add_f16 v10, v12, v10
	v_fma_f16 v162, v39, s7, v161
	v_add_f16_e32 v27, v28, v27
	v_fma_f16 v28, v37, s15, -v160
	v_pk_add_f16 v10, v10, v11
	;; [unrolled: 9-line block ×3, first 2 shown]
	v_add_f16_e32 v155, v163, v155
	v_add_f16_e32 v27, v28, v27
	v_mul_u32_u24_e32 v28, 0x44, v0
	v_pk_add_f16 v6, v8, v6
	v_fma_f16 v51, v29, s19, -v138
	v_add3_u32 v28, 0, v28, v25
	v_pk_add_f16 v6, v6, v7
	v_pack_b32_f16 v7, v155, v146
	v_add_f16_e32 v50, v51, v50
	v_fma_f16 v51, v32, s15, -v139
	v_fma_f16 v31, v31, s24, v147
	ds_write2_b32 v28, v6, v7 offset1:1
	v_pack_b32_f16 v6, v119, v110
	v_pack_b32_f16 v7, v137, v128
	v_add_f16_e32 v50, v51, v50
	v_fma_f16 v51, v33, s4, -v140
	v_add_f16_e32 v30, v31, v30
	v_fma_f16 v31, v34, s0, v148
	ds_write2_b32 v28, v7, v6 offset0:2 offset1:3
	v_pack_b32_f16 v6, v83, v74
	v_pack_b32_f16 v7, v101, v92
	v_add_f16_e32 v50, v51, v50
	v_fma_f16 v51, v35, s7, -v141
	v_add_f16_e32 v30, v31, v30
	v_fma_f16 v31, v36, s26, v149
	ds_write2_b32 v28, v7, v6 offset0:4 offset1:5
	v_pack_b32_f16 v6, v16, v14
	v_pack_b32_f16 v7, v65, v56
	s_mov_b32 s0, 0xffff
	v_add_f16_e32 v50, v51, v50
	v_fma_f16 v51, v37, s18, -v142
	v_add_f16_e32 v30, v31, v30
	v_fma_f16 v31, v38, s20, v150
	ds_write2_b32 v28, v7, v6 offset0:6 offset1:7
	v_bfi_b32 v6, s0, v4, v5
	s_mov_b32 s0, 0x5040100
	v_add_f16_e32 v50, v51, v50
	v_fma_f16 v51, v39, s17, -v143
	v_add_f16_e32 v30, v31, v30
	v_fma_f16 v31, v40, s16, v151
	v_perm_b32 v7, v26, v5, s0
	v_add_f16_e32 v50, v51, v50
	v_fma_f16 v51, v41, s6, -v144
	v_add_f16_e32 v30, v31, v30
	v_fma_f16 v31, v42, s10, v152
	ds_write2_b32 v28, v6, v7 offset0:8 offset1:9
	v_pack_b32_f16 v6, v20, v19
	v_pack_b32_f16 v7, v17, v18
	v_add_f16_e32 v50, v51, v50
	v_add_f16_e32 v30, v31, v30
	v_fma_f16 v31, v43, s5, v153
	ds_write2_b32 v28, v7, v6 offset0:10 offset1:11
	v_pack_b32_f16 v6, v46, v45
	v_pack_b32_f16 v7, v44, v21
	v_add_f16_e32 v30, v31, v30
	ds_write2_b32 v28, v7, v6 offset0:12 offset1:13
	v_pack_b32_f16 v6, v50, v49
	v_pack_b32_f16 v7, v48, v47
	ds_write2_b32 v28, v7, v6 offset0:14 offset1:15
	v_pack_b32_f16 v6, v27, v30
	ds_write_b32 v28, v6 offset:64
.LBB0_12:
	s_or_b64 exec, exec, s[2:3]
	s_waitcnt lgkmcnt(0)
	s_barrier
	ds_read2_b32 v[10:11], v24 offset0:102 offset1:153
	ds_read2_b32 v[8:9], v24 offset0:34 offset1:68
	;; [unrolled: 1-line block ×3, first 2 shown]
	ds_read_b32 v15, v22
	ds_read_b32 v16, v24 offset:1020
	v_cmp_gt_u32_e64 s[0:1], 17, v0
	v_lshrrev_b32_e32 v14, 16, v5
	s_and_saveexec_b64 s[2:3], s[0:1]
	s_cbranch_execz .LBB0_14
; %bb.13:
	v_add_u32_e32 v4, 0x200, v24
	ds_read2_b32 v[4:5], v4 offset0:8 offset1:161
	s_waitcnt lgkmcnt(0)
	v_lshrrev_b32_e32 v14, 16, v4
	v_lshrrev_b32_e32 v26, 16, v5
.LBB0_14:
	s_or_b64 exec, exec, s[2:3]
	v_subrev_u32_e32 v6, 17, v0
	v_cndmask_b32_e64 v6, v6, v0, s[0:1]
	v_mov_b32_e32 v7, 0
	v_lshlrev_b64 v[17:18], 2, v[6:7]
	v_mov_b32_e32 v20, s9
	v_add_co_u32_e64 v19, s[2:3], s8, v17
	v_add_u16_e32 v17, 34, v0
	s_movk_i32 s4, 0xf1
	v_addc_co_u32_e64 v20, s[2:3], v20, v18, s[2:3]
	v_mul_lo_u16_sdwa v18, v17, s4 dst_sel:DWORD dst_unused:UNUSED_PAD src0_sel:BYTE_0 src1_sel:DWORD
	v_lshrrev_b16_e32 v18, 12, v18
	v_mul_lo_u16_e32 v21, 17, v18
	v_sub_u16_e32 v21, v17, v21
	v_add_u16_e32 v17, 0x44, v0
	v_mul_lo_u16_sdwa v27, v17, s4 dst_sel:DWORD dst_unused:UNUSED_PAD src0_sel:BYTE_0 src1_sel:DWORD
	v_lshrrev_b16_e32 v27, 12, v27
	v_mul_lo_u16_e32 v28, 17, v27
	v_sub_u16_e32 v28, v17, v28
	v_add_u16_e32 v17, 0x66, v0
	v_mul_lo_u16_sdwa v29, v17, s4 dst_sel:DWORD dst_unused:UNUSED_PAD src0_sel:BYTE_0 src1_sel:DWORD
	v_lshrrev_b16_e32 v29, 12, v29
	v_mul_lo_u16_e32 v30, 17, v29
	v_sub_u16_e32 v30, v17, v30
	v_mov_b32_e32 v17, 2
	v_lshlrev_b32_sdwa v30, v17, v30 dst_sel:DWORD dst_unused:UNUSED_PAD src0_sel:DWORD src1_sel:BYTE_0
	v_lshlrev_b32_sdwa v21, v17, v21 dst_sel:DWORD dst_unused:UNUSED_PAD src0_sel:DWORD src1_sel:BYTE_0
	;; [unrolled: 1-line block ×3, first 2 shown]
	global_load_dword v31, v30, s[8:9]
	global_load_dword v32, v28, s[8:9]
	global_load_dword v33, v21, s[8:9]
	global_load_dword v34, v[19:20], off
	v_mov_b32_e32 v19, 0x88
	v_cmp_lt_u32_e64 s[2:3], 16, v0
	v_cndmask_b32_e64 v19, 0, v19, s[2:3]
	s_movk_i32 s5, 0x88
	v_add_u32_e32 v19, 0, v19
	v_lshlrev_b32_e32 v6, 2, v6
	v_add3_u32 v6, v19, v6, v25
	v_mad_u32_u24 v18, v18, s5, 0
	v_mad_u32_u24 v19, v27, s5, 0
	;; [unrolled: 1-line block ×3, first 2 shown]
	v_add3_u32 v18, v18, v21, v25
	v_add3_u32 v19, v19, v28, v25
	s_mov_b32 s6, 0xffff
	v_add3_u32 v20, v20, v30, v25
	s_waitcnt vmcnt(0) lgkmcnt(0)
	s_barrier
	v_pk_mul_f16 v21, v31, v16 op_sel:[0,1]
	v_pk_mul_f16 v27, v32, v13 op_sel:[0,1]
	;; [unrolled: 1-line block ×4, first 2 shown]
	v_pk_fma_f16 v30, v31, v16, v21 op_sel:[0,0,1] op_sel_hi:[1,1,0]
	v_pk_fma_f16 v16, v31, v16, v21 op_sel:[0,0,1] op_sel_hi:[1,0,0] neg_lo:[1,0,0] neg_hi:[1,0,0]
	v_pk_fma_f16 v21, v32, v13, v27 op_sel:[0,0,1] op_sel_hi:[1,1,0]
	v_pk_fma_f16 v13, v32, v13, v27 op_sel:[0,0,1] op_sel_hi:[1,0,0] neg_lo:[1,0,0] neg_hi:[1,0,0]
	;; [unrolled: 2-line block ×4, first 2 shown]
	v_bfi_b32 v11, s6, v28, v11
	v_bfi_b32 v16, s6, v30, v16
	;; [unrolled: 1-line block ×4, first 2 shown]
	v_pk_add_f16 v11, v15, v11 neg_lo:[0,1] neg_hi:[0,1]
	v_pk_add_f16 v16, v10, v16 neg_lo:[0,1] neg_hi:[0,1]
	;; [unrolled: 1-line block ×4, first 2 shown]
	v_pk_fma_f16 v15, v15, 2.0, v11 op_sel_hi:[1,0,1] neg_lo:[0,0,1] neg_hi:[0,0,1]
	v_pk_fma_f16 v10, v10, 2.0, v16 op_sel_hi:[1,0,1] neg_lo:[0,0,1] neg_hi:[0,0,1]
	;; [unrolled: 1-line block ×4, first 2 shown]
	ds_write2_b32 v6, v15, v11 offset1:17
	ds_write2_b32 v18, v8, v12 offset1:17
	;; [unrolled: 1-line block ×4, first 2 shown]
	s_and_saveexec_b64 s[2:3], s[0:1]
	s_cbranch_execz .LBB0_16
; %bb.15:
	v_add_u16_e32 v6, 0x88, v0
	v_mul_lo_u16_sdwa v8, v6, s4 dst_sel:DWORD dst_unused:UNUSED_PAD src0_sel:BYTE_0 src1_sel:DWORD
	v_lshrrev_b16_e32 v8, 12, v8
	v_mul_lo_u16_e32 v8, 17, v8
	v_sub_u16_e32 v6, v6, v8
	v_lshlrev_b32_sdwa v6, v17, v6 dst_sel:DWORD dst_unused:UNUSED_PAD src0_sel:DWORD src1_sel:BYTE_0
	global_load_dword v8, v6, s[8:9]
	v_add3_u32 v6, 0, v6, v25
	v_add_u32_e32 v6, 0x400, v6
	s_waitcnt vmcnt(0)
	v_mul_f16_sdwa v9, v26, v8 dst_sel:DWORD dst_unused:UNUSED_PAD src0_sel:DWORD src1_sel:WORD_1
	v_mul_f16_sdwa v10, v5, v8 dst_sel:DWORD dst_unused:UNUSED_PAD src0_sel:DWORD src1_sel:WORD_1
	v_fma_f16 v5, v5, v8, v9
	v_fma_f16 v8, v26, v8, -v10
	v_sub_f16_e32 v5, v4, v5
	v_sub_f16_e32 v8, v14, v8
	v_fma_f16 v4, v4, 2.0, -v5
	v_fma_f16 v9, v14, 2.0, -v8
	v_pack_b32_f16 v5, v5, v8
	v_pack_b32_f16 v4, v4, v9
	ds_write2_b32 v6, v4, v5 offset0:16 offset1:33
.LBB0_16:
	s_or_b64 exec, exec, s[2:3]
	v_lshlrev_b32_e32 v6, 3, v0
	v_lshlrev_b64 v[4:5], 2, v[6:7]
	v_mov_b32_e32 v6, s9
	v_add_co_u32_e64 v12, s[2:3], s8, v4
	v_addc_co_u32_e64 v13, s[2:3], v6, v5, s[2:3]
	s_waitcnt lgkmcnt(0)
	s_barrier
	global_load_dwordx4 v[4:7], v[12:13], off offset:68
	global_load_dwordx4 v[8:11], v[12:13], off offset:84
	v_add_u32_e32 v18, 0x200, v24
	ds_read_b32 v20, v22
	ds_read2_b32 v[12:13], v24 offset0:34 offset1:68
	ds_read2_b32 v[14:15], v24 offset0:102 offset1:136
	;; [unrolled: 1-line block ×4, first 2 shown]
	s_movk_i32 s2, 0x3be1
	s_waitcnt lgkmcnt(3)
	v_lshrrev_b32_e32 v25, 16, v12
	v_lshrrev_b32_e32 v26, 16, v13
	s_waitcnt lgkmcnt(1)
	v_lshrrev_b32_e32 v21, 16, v17
	s_waitcnt lgkmcnt(0)
	v_lshrrev_b32_e32 v32, 16, v19
	v_lshrrev_b32_e32 v27, 16, v14
	;; [unrolled: 1-line block ×5, first 2 shown]
	s_movk_i32 s3, 0x3aee
	s_movk_i32 s4, 0x3579
	s_mov_b32 s10, 0xb924
	s_movk_i32 s5, 0x3a21
	v_lshrrev_b32_e32 v30, 16, v20
	s_movk_i32 s6, 0x318f
	s_mov_b32 s7, 0xbb84
	s_waitcnt vmcnt(0)
	s_barrier
	v_mul_f16_sdwa v33, v4, v25 dst_sel:DWORD dst_unused:UNUSED_PAD src0_sel:WORD_1 src1_sel:DWORD
	v_mul_f16_sdwa v47, v32, v11 dst_sel:DWORD dst_unused:UNUSED_PAD src0_sel:DWORD src1_sel:WORD_1
	v_mul_f16_sdwa v34, v4, v12 dst_sel:DWORD dst_unused:UNUSED_PAD src0_sel:WORD_1 src1_sel:DWORD
	v_mul_f16_sdwa v35, v5, v26 dst_sel:DWORD dst_unused:UNUSED_PAD src0_sel:WORD_1 src1_sel:DWORD
	;; [unrolled: 1-line block ×4, first 2 shown]
	v_mul_f16_sdwa v43, v21, v9 dst_sel:DWORD dst_unused:UNUSED_PAD src0_sel:DWORD src1_sel:WORD_1
	v_mul_f16_sdwa v44, v17, v9 dst_sel:DWORD dst_unused:UNUSED_PAD src0_sel:DWORD src1_sel:WORD_1
	;; [unrolled: 1-line block ×5, first 2 shown]
	v_fma_f16 v12, v4, v12, v33
	v_fma_f16 v19, v19, v11, v47
	v_mul_f16_sdwa v38, v6, v14 dst_sel:DWORD dst_unused:UNUSED_PAD src0_sel:WORD_1 src1_sel:DWORD
	v_mul_f16_sdwa v39, v7, v28 dst_sel:DWORD dst_unused:UNUSED_PAD src0_sel:WORD_1 src1_sel:DWORD
	;; [unrolled: 1-line block ×5, first 2 shown]
	v_fma_f16 v4, v4, v25, -v34
	v_fma_f16 v13, v5, v13, v35
	v_fma_f16 v5, v5, v26, -v36
	v_fma_f16 v14, v6, v14, v37
	v_fma_f16 v17, v17, v9, v43
	v_fma_f16 v9, v21, v9, -v44
	v_fma_f16 v18, v18, v10, v45
	v_fma_f16 v10, v31, v10, -v46
	v_fma_f16 v11, v32, v11, -v48
	v_add_f16_e32 v21, v12, v19
	v_sub_f16_e32 v12, v12, v19
	v_fma_f16 v6, v6, v27, -v38
	v_fma_f16 v15, v7, v15, v39
	v_fma_f16 v7, v7, v28, -v40
	v_fma_f16 v16, v8, v16, v41
	v_fma_f16 v8, v8, v29, -v42
	v_add_f16_e32 v25, v4, v11
	v_add_f16_e32 v27, v5, v10
	;; [unrolled: 1-line block ×3, first 2 shown]
	v_sub_f16_e32 v4, v4, v11
	v_sub_f16_e32 v11, v13, v18
	;; [unrolled: 1-line block ×4, first 2 shown]
	v_mul_f16_e32 v14, 0x3924, v12
	v_add_f16_e32 v26, v13, v18
	v_add_f16_e32 v29, v6, v9
	v_sub_f16_e32 v6, v6, v9
	v_sub_f16_e32 v9, v15, v16
	;; [unrolled: 1-line block ×3, first 2 shown]
	v_mul_f16_e32 v17, 0x3924, v4
	v_fma_f16 v14, v11, s2, v14
	v_fma_f16 v17, v5, s2, v17
	;; [unrolled: 1-line block ×3, first 2 shown]
	v_mul_f16_e32 v33, 0xb924, v9
	v_mul_f16_e32 v34, 0xb924, v13
	v_fma_f16 v17, v6, s3, v17
	v_fma_f16 v14, v9, s4, v14
	;; [unrolled: 1-line block ×4, first 2 shown]
	s_mov_b32 s2, 0xbaee
	v_add_f16_e32 v37, v9, v12
	v_mul_f16_e32 v9, 0x3be1, v9
	v_fma_f16 v17, v13, s4, v17
	v_fma_f16 v34, v6, s2, v34
	v_add_f16_e32 v38, v13, v4
	v_mul_f16_e32 v13, 0x3be1, v13
	v_fma_f16 v9, v11, s10, -v9
	v_fma_f16 v34, v5, s4, v34
	v_sub_f16_e32 v38, v38, v5
	v_add_f16_e32 v44, v27, v25
	v_fma_f16 v5, v5, s10, -v13
	v_fma_f16 v9, v10, s3, v9
	v_fma_f16 v5, v6, s3, v5
	;; [unrolled: 1-line block ×3, first 2 shown]
	v_add_f16_e32 v9, v29, v44
	v_fma_f16 v18, v21, s5, v20
	v_fma_f16 v19, v25, s5, v30
	v_add_f16_e32 v31, v15, v16
	v_add_f16_e32 v32, v7, v8
	;; [unrolled: 1-line block ×4, first 2 shown]
	v_fma_f16 v18, v26, s6, v18
	v_fma_f16 v19, v27, s6, v19
	v_fma_f16 v35, v31, s5, v20
	v_fma_f16 v36, v32, s5, v30
	v_fma_f16 v4, v4, s4, v5
	v_add_f16_e32 v5, v28, v43
	v_add_f16_e32 v7, v8, v7
	v_fma_f16 v8, v26, s5, v20
	v_fma_f16 v9, v27, s5, v30
	v_fma_f16 v18, v28, -0.5, v18
	v_fma_f16 v19, v29, -0.5, v19
	v_fma_f16 v35, v21, s6, v35
	v_fma_f16 v36, v25, s6, v36
	v_add_f16_e32 v5, v15, v5
	v_fma_f16 v8, v31, s6, v8
	v_fma_f16 v9, v32, s6, v9
	;; [unrolled: 1-line block ×5, first 2 shown]
	v_fma_f16 v35, v28, -0.5, v35
	v_fma_f16 v36, v29, -0.5, v36
	v_add_f16_e32 v41, v28, v20
	v_add_f16_e32 v42, v29, v30
	;; [unrolled: 1-line block ×5, first 2 shown]
	v_fma_f16 v8, v28, -0.5, v8
	v_fma_f16 v9, v29, -0.5, v9
	v_sub_f16_e32 v18, v18, v17
	v_add_f16_e32 v19, v14, v19
	v_fma_f16 v33, v11, s4, v33
	v_fma_f16 v35, v26, s7, v35
	;; [unrolled: 1-line block ×3, first 2 shown]
	v_sub_f16_e32 v37, v37, v11
	v_fma_f16 v41, v45, -0.5, v41
	v_fma_f16 v42, v46, -0.5, v42
	v_add_f16_e32 v5, v20, v5
	v_add_f16_e32 v7, v30, v7
	v_fma_f16 v8, v21, s7, v8
	v_fma_f16 v9, v25, s7, v9
	v_sub_f16_e32 v35, v35, v34
	v_add_f16_e32 v36, v33, v36
	v_mul_f16_e32 v39, 0x3aee, v37
	v_mul_f16_e32 v40, 0x3aee, v38
	v_fma_f16 v38, v38, s2, v41
	v_fma_f16 v37, v37, s3, v42
	v_sub_f16_e32 v8, v8, v4
	v_add_f16_e32 v9, v6, v9
	v_pack_b32_f16 v5, v5, v7
	v_pack_b32_f16 v7, v18, v19
	v_fma_f16 v4, v4, 2.0, v8
	v_fma_f16 v6, v6, -2.0, v9
	ds_write2_b32 v24, v5, v7 offset1:34
	v_pack_b32_f16 v5, v35, v36
	v_pack_b32_f16 v7, v38, v37
	v_fma_f16 v34, v34, 2.0, v35
	v_fma_f16 v33, v33, -2.0, v36
	v_fma_f16 v40, v40, 2.0, v38
	v_fma_f16 v39, v39, -2.0, v37
	ds_write2_b32 v24, v5, v7 offset0:68 offset1:102
	v_pack_b32_f16 v5, v8, v9
	v_pack_b32_f16 v4, v4, v6
	v_fma_f16 v17, v17, 2.0, v18
	v_fma_f16 v14, v14, -2.0, v19
	ds_write2_b32 v24, v5, v4 offset0:136 offset1:170
	v_pack_b32_f16 v4, v40, v39
	v_pack_b32_f16 v5, v34, v33
	ds_write2_b32 v24, v4, v5 offset0:204 offset1:238
	v_pack_b32_f16 v4, v17, v14
	ds_write_b32 v24, v4 offset:1088
	s_waitcnt lgkmcnt(0)
	s_barrier
	ds_read_b32 v6, v22
	v_sub_u32_e32 v8, v1, v23
	v_cmp_ne_u32_e64 s[2:3], 0, v0
                                        ; implicit-def: $vgpr10
                                        ; implicit-def: $vgpr9
                                        ; implicit-def: $vgpr4_vgpr5
	s_and_saveexec_b64 s[4:5], s[2:3]
	s_xor_b64 s[4:5], exec, s[4:5]
	s_cbranch_execz .LBB0_18
; %bb.17:
	v_mov_b32_e32 v1, 0
	v_lshlrev_b64 v[4:5], 2, v[0:1]
	v_mov_b32_e32 v7, s9
	v_add_co_u32_e64 v4, s[2:3], s8, v4
	v_addc_co_u32_e64 v5, s[2:3], v7, v5, s[2:3]
	global_load_dword v4, v[4:5], off offset:1156
	ds_read_b32 v5, v8 offset:1224
	s_waitcnt lgkmcnt(0)
	v_add_f16_e32 v7, v5, v6
	v_add_f16_sdwa v9, v5, v6 dst_sel:DWORD dst_unused:UNUSED_PAD src0_sel:WORD_1 src1_sel:WORD_1
	v_sub_f16_e32 v10, v6, v5
	v_sub_f16_sdwa v5, v6, v5 dst_sel:DWORD dst_unused:UNUSED_PAD src0_sel:WORD_1 src1_sel:WORD_1
	v_mul_f16_e32 v6, 0.5, v9
	v_mul_f16_e32 v9, 0.5, v10
	;; [unrolled: 1-line block ×3, first 2 shown]
	s_waitcnt vmcnt(0)
	v_lshrrev_b32_e32 v10, 16, v4
	v_mul_f16_e32 v11, v10, v9
	v_fma_f16 v12, v6, v10, v5
	v_fma_f16 v5, v6, v10, -v5
	v_fma_f16 v10, v7, 0.5, v11
	v_fma_f16 v12, -v4, v9, v12
	v_fma_f16 v7, v7, 0.5, -v11
	v_fma_f16 v5, -v4, v9, v5
	v_fma_f16 v9, v4, v6, v10
	ds_write_b16 v22, v12 offset:2
	v_fma_f16 v10, -v4, v6, v7
	ds_write_b16 v8, v5 offset:1226
	v_mov_b32_e32 v5, v1
	v_mov_b32_e32 v4, v0
                                        ; implicit-def: $vgpr6
                                        ; implicit-def: $vgpr1
.LBB0_18:
	s_andn2_saveexec_b64 s[2:3], s[4:5]
	s_cbranch_execz .LBB0_20
; %bb.19:
	v_mov_b32_e32 v4, 0
	ds_write_b16 v22, v4 offset:2
	ds_write_b16 v8, v4 offset:1226
	ds_read_u16 v4, v1 offset:614
	s_waitcnt lgkmcnt(3)
	v_add_f16_sdwa v9, v6, v6 dst_sel:DWORD dst_unused:UNUSED_PAD src0_sel:WORD_1 src1_sel:DWORD
	v_sub_f16_sdwa v10, v6, v6 dst_sel:DWORD dst_unused:UNUSED_PAD src0_sel:DWORD src1_sel:WORD_1
	s_waitcnt lgkmcnt(0)
	v_xor_b32_e32 v6, 0x8000, v4
	v_mov_b32_e32 v4, 0
	v_mov_b32_e32 v5, 0
	ds_write_b16 v1, v6 offset:614
.LBB0_20:
	s_or_b64 exec, exec, s[2:3]
	s_add_u32 s2, s8, 0x484
	v_lshlrev_b64 v[4:5], 2, v[4:5]
	s_addc_u32 s3, s9, 0
	v_mov_b32_e32 v1, s3
	s_waitcnt lgkmcnt(0)
	v_add_co_u32_e64 v6, s[2:3], s2, v4
	v_addc_co_u32_e64 v7, s[2:3], v1, v5, s[2:3]
	global_load_dword v1, v[6:7], off offset:136
	global_load_dword v11, v[6:7], off offset:272
	;; [unrolled: 1-line block ×3, first 2 shown]
	ds_write_b16 v22, v9
	ds_write_b16 v8, v10 offset:1224
	ds_read_b32 v9, v22 offset:136
	ds_read_b32 v10, v8 offset:1088
	s_mov_b32 s4, 0xffff
	s_waitcnt lgkmcnt(0)
	v_pk_add_f16 v13, v9, v10 neg_lo:[0,1] neg_hi:[0,1]
	v_pk_add_f16 v9, v9, v10
	v_bfi_b32 v10, s4, v13, v9
	v_bfi_b32 v9, s4, v9, v13
	v_pk_mul_f16 v10, v10, 0.5 op_sel_hi:[1,0]
	v_pk_mul_f16 v9, v9, 0.5 op_sel_hi:[1,0]
	s_waitcnt vmcnt(2)
	v_pk_fma_f16 v13, v1, v10, v9 op_sel:[1,0,0]
	v_pk_mul_f16 v14, v1, v10 op_sel_hi:[0,1]
	v_pk_fma_f16 v15, v1, v10, v9 op_sel:[1,0,0] neg_lo:[1,0,0] neg_hi:[1,0,0]
	v_pk_fma_f16 v1, v1, v10, v9 op_sel:[1,0,0] neg_lo:[0,0,1] neg_hi:[0,0,1]
	v_pk_add_f16 v9, v13, v14 op_sel:[0,1] op_sel_hi:[1,0]
	v_pk_add_f16 v10, v13, v14 op_sel:[0,1] op_sel_hi:[1,0] neg_lo:[0,1] neg_hi:[0,1]
	v_pk_add_f16 v13, v15, v14 op_sel:[0,1] op_sel_hi:[1,0] neg_lo:[0,1] neg_hi:[0,1]
	;; [unrolled: 1-line block ×3, first 2 shown]
	v_bfi_b32 v9, s4, v9, v10
	v_bfi_b32 v1, s4, v13, v1
	ds_write_b32 v22, v9 offset:136
	ds_write_b32 v8, v1 offset:1088
	ds_read_b32 v1, v22 offset:272
	ds_read_b32 v9, v8 offset:952
	s_waitcnt lgkmcnt(0)
	v_pk_add_f16 v10, v1, v9 neg_lo:[0,1] neg_hi:[0,1]
	v_pk_add_f16 v1, v1, v9
	v_bfi_b32 v9, s4, v10, v1
	v_bfi_b32 v1, s4, v1, v10
	v_pk_mul_f16 v9, v9, 0.5 op_sel_hi:[1,0]
	v_pk_mul_f16 v1, v1, 0.5 op_sel_hi:[1,0]
	s_waitcnt vmcnt(1)
	v_pk_fma_f16 v10, v11, v9, v1 op_sel:[1,0,0]
	v_pk_mul_f16 v13, v11, v9 op_sel_hi:[0,1]
	v_pk_fma_f16 v14, v11, v9, v1 op_sel:[1,0,0] neg_lo:[1,0,0] neg_hi:[1,0,0]
	v_pk_fma_f16 v1, v11, v9, v1 op_sel:[1,0,0] neg_lo:[0,0,1] neg_hi:[0,0,1]
	v_pk_add_f16 v9, v10, v13 op_sel:[0,1] op_sel_hi:[1,0]
	v_pk_add_f16 v10, v10, v13 op_sel:[0,1] op_sel_hi:[1,0] neg_lo:[0,1] neg_hi:[0,1]
	v_pk_add_f16 v11, v14, v13 op_sel:[0,1] op_sel_hi:[1,0] neg_lo:[0,1] neg_hi:[0,1]
	;; [unrolled: 1-line block ×3, first 2 shown]
	v_bfi_b32 v9, s4, v9, v10
	v_bfi_b32 v1, s4, v11, v1
	ds_write_b32 v22, v9 offset:272
	ds_write_b32 v8, v1 offset:952
	ds_read_b32 v1, v22 offset:408
	ds_read_b32 v9, v8 offset:816
	s_waitcnt lgkmcnt(0)
	v_pk_add_f16 v10, v1, v9 neg_lo:[0,1] neg_hi:[0,1]
	v_pk_add_f16 v1, v1, v9
	v_bfi_b32 v9, s4, v10, v1
	v_bfi_b32 v1, s4, v1, v10
	v_pk_mul_f16 v9, v9, 0.5 op_sel_hi:[1,0]
	v_pk_mul_f16 v1, v1, 0.5 op_sel_hi:[1,0]
	s_waitcnt vmcnt(0)
	v_pk_fma_f16 v10, v12, v9, v1 op_sel:[1,0,0]
	v_pk_mul_f16 v11, v12, v9 op_sel_hi:[0,1]
	v_pk_fma_f16 v13, v12, v9, v1 op_sel:[1,0,0] neg_lo:[1,0,0] neg_hi:[1,0,0]
	v_pk_fma_f16 v1, v12, v9, v1 op_sel:[1,0,0] neg_lo:[0,0,1] neg_hi:[0,0,1]
	v_pk_add_f16 v9, v10, v11 op_sel:[0,1] op_sel_hi:[1,0]
	v_pk_add_f16 v10, v10, v11 op_sel:[0,1] op_sel_hi:[1,0] neg_lo:[0,1] neg_hi:[0,1]
	v_pk_add_f16 v12, v13, v11 op_sel:[0,1] op_sel_hi:[1,0] neg_lo:[0,1] neg_hi:[0,1]
	;; [unrolled: 1-line block ×3, first 2 shown]
	v_bfi_b32 v9, s4, v9, v10
	v_bfi_b32 v1, s4, v12, v1
	ds_write_b32 v22, v9 offset:408
	ds_write_b32 v8, v1 offset:816
	s_and_saveexec_b64 s[2:3], s[0:1]
	s_cbranch_execz .LBB0_22
; %bb.21:
	global_load_dword v1, v[6:7], off offset:544
	ds_read_b32 v6, v22 offset:544
	ds_read_b32 v7, v8 offset:680
	s_waitcnt lgkmcnt(0)
	v_pk_add_f16 v9, v6, v7 neg_lo:[0,1] neg_hi:[0,1]
	v_pk_add_f16 v6, v6, v7
	v_bfi_b32 v7, s4, v9, v6
	v_bfi_b32 v6, s4, v6, v9
	v_pk_mul_f16 v7, v7, 0.5 op_sel_hi:[1,0]
	v_pk_mul_f16 v6, v6, 0.5 op_sel_hi:[1,0]
	s_waitcnt vmcnt(0)
	v_pk_fma_f16 v9, v1, v7, v6 op_sel:[1,0,0]
	v_pk_mul_f16 v10, v1, v7 op_sel_hi:[0,1]
	v_pk_fma_f16 v11, v1, v7, v6 op_sel:[1,0,0] neg_lo:[1,0,0] neg_hi:[1,0,0]
	v_pk_fma_f16 v1, v1, v7, v6 op_sel:[1,0,0] neg_lo:[0,0,1] neg_hi:[0,0,1]
	v_pk_add_f16 v6, v9, v10 op_sel:[0,1] op_sel_hi:[1,0]
	v_pk_add_f16 v7, v9, v10 op_sel:[0,1] op_sel_hi:[1,0] neg_lo:[0,1] neg_hi:[0,1]
	v_pk_add_f16 v9, v11, v10 op_sel:[0,1] op_sel_hi:[1,0] neg_lo:[0,1] neg_hi:[0,1]
	;; [unrolled: 1-line block ×3, first 2 shown]
	v_bfi_b32 v6, s4, v6, v7
	v_bfi_b32 v1, s4, v9, v1
	ds_write_b32 v22, v6 offset:544
	ds_write_b32 v8, v1 offset:680
.LBB0_22:
	s_or_b64 exec, exec, s[2:3]
	s_waitcnt lgkmcnt(0)
	s_barrier
	s_and_saveexec_b64 s[0:1], vcc
	s_cbranch_execz .LBB0_25
; %bb.23:
	ds_read2_b32 v[6:7], v22 offset1:34
	v_mov_b32_e32 v8, s13
	v_add_co_u32_e32 v1, vcc, s12, v2
	v_addc_co_u32_e32 v2, vcc, v8, v3, vcc
	ds_read2_b32 v[8:9], v22 offset0:68 offset1:102
	v_add_co_u32_e32 v3, vcc, v1, v4
	v_addc_co_u32_e32 v4, vcc, v2, v5, vcc
	s_waitcnt lgkmcnt(1)
	global_store_dword v[3:4], v6, off
	global_store_dword v[3:4], v7, off offset:136
	ds_read2_b32 v[5:6], v22 offset0:136 offset1:170
	s_waitcnt lgkmcnt(1)
	global_store_dword v[3:4], v8, off offset:272
	ds_read2_b32 v[7:8], v22 offset0:204 offset1:238
	global_store_dword v[3:4], v9, off offset:408
	ds_read_b32 v9, v22 offset:1088
	v_cmp_eq_u32_e32 vcc, 33, v0
	s_waitcnt lgkmcnt(2)
	global_store_dword v[3:4], v5, off offset:544
	global_store_dword v[3:4], v6, off offset:680
	s_waitcnt lgkmcnt(1)
	global_store_dword v[3:4], v7, off offset:816
	global_store_dword v[3:4], v8, off offset:952
	s_waitcnt lgkmcnt(0)
	global_store_dword v[3:4], v9, off offset:1088
	s_and_b64 exec, exec, vcc
	s_cbranch_execz .LBB0_25
; %bb.24:
	ds_read_b32 v0, v22 offset:1092
	s_waitcnt lgkmcnt(0)
	global_store_dword v[1:2], v0, off offset:1224
.LBB0_25:
	s_endpgm
	.section	.rodata,"a",@progbits
	.p2align	6, 0x0
	.amdhsa_kernel fft_rtc_back_len306_factors_17_2_9_wgs_238_tpt_34_halfLds_half_ip_CI_unitstride_sbrr_R2C_dirReg
		.amdhsa_group_segment_fixed_size 0
		.amdhsa_private_segment_fixed_size 0
		.amdhsa_kernarg_size 88
		.amdhsa_user_sgpr_count 6
		.amdhsa_user_sgpr_private_segment_buffer 1
		.amdhsa_user_sgpr_dispatch_ptr 0
		.amdhsa_user_sgpr_queue_ptr 0
		.amdhsa_user_sgpr_kernarg_segment_ptr 1
		.amdhsa_user_sgpr_dispatch_id 0
		.amdhsa_user_sgpr_flat_scratch_init 0
		.amdhsa_user_sgpr_private_segment_size 0
		.amdhsa_uses_dynamic_stack 0
		.amdhsa_system_sgpr_private_segment_wavefront_offset 0
		.amdhsa_system_sgpr_workgroup_id_x 1
		.amdhsa_system_sgpr_workgroup_id_y 0
		.amdhsa_system_sgpr_workgroup_id_z 0
		.amdhsa_system_sgpr_workgroup_info 0
		.amdhsa_system_vgpr_workitem_id 0
		.amdhsa_next_free_vgpr 164
		.amdhsa_next_free_sgpr 30
		.amdhsa_reserve_vcc 1
		.amdhsa_reserve_flat_scratch 0
		.amdhsa_float_round_mode_32 0
		.amdhsa_float_round_mode_16_64 0
		.amdhsa_float_denorm_mode_32 3
		.amdhsa_float_denorm_mode_16_64 3
		.amdhsa_dx10_clamp 1
		.amdhsa_ieee_mode 1
		.amdhsa_fp16_overflow 0
		.amdhsa_exception_fp_ieee_invalid_op 0
		.amdhsa_exception_fp_denorm_src 0
		.amdhsa_exception_fp_ieee_div_zero 0
		.amdhsa_exception_fp_ieee_overflow 0
		.amdhsa_exception_fp_ieee_underflow 0
		.amdhsa_exception_fp_ieee_inexact 0
		.amdhsa_exception_int_div_zero 0
	.end_amdhsa_kernel
	.text
.Lfunc_end0:
	.size	fft_rtc_back_len306_factors_17_2_9_wgs_238_tpt_34_halfLds_half_ip_CI_unitstride_sbrr_R2C_dirReg, .Lfunc_end0-fft_rtc_back_len306_factors_17_2_9_wgs_238_tpt_34_halfLds_half_ip_CI_unitstride_sbrr_R2C_dirReg
                                        ; -- End function
	.section	.AMDGPU.csdata,"",@progbits
; Kernel info:
; codeLenInByte = 9436
; NumSgprs: 34
; NumVgprs: 164
; ScratchSize: 0
; MemoryBound: 0
; FloatMode: 240
; IeeeMode: 1
; LDSByteSize: 0 bytes/workgroup (compile time only)
; SGPRBlocks: 4
; VGPRBlocks: 40
; NumSGPRsForWavesPerEU: 34
; NumVGPRsForWavesPerEU: 164
; Occupancy: 1
; WaveLimiterHint : 1
; COMPUTE_PGM_RSRC2:SCRATCH_EN: 0
; COMPUTE_PGM_RSRC2:USER_SGPR: 6
; COMPUTE_PGM_RSRC2:TRAP_HANDLER: 0
; COMPUTE_PGM_RSRC2:TGID_X_EN: 1
; COMPUTE_PGM_RSRC2:TGID_Y_EN: 0
; COMPUTE_PGM_RSRC2:TGID_Z_EN: 0
; COMPUTE_PGM_RSRC2:TIDIG_COMP_CNT: 0
	.type	__hip_cuid_c6c96818f42bc1cf,@object ; @__hip_cuid_c6c96818f42bc1cf
	.section	.bss,"aw",@nobits
	.globl	__hip_cuid_c6c96818f42bc1cf
__hip_cuid_c6c96818f42bc1cf:
	.byte	0                               ; 0x0
	.size	__hip_cuid_c6c96818f42bc1cf, 1

	.ident	"AMD clang version 19.0.0git (https://github.com/RadeonOpenCompute/llvm-project roc-6.4.0 25133 c7fe45cf4b819c5991fe208aaa96edf142730f1d)"
	.section	".note.GNU-stack","",@progbits
	.addrsig
	.addrsig_sym __hip_cuid_c6c96818f42bc1cf
	.amdgpu_metadata
---
amdhsa.kernels:
  - .args:
      - .actual_access:  read_only
        .address_space:  global
        .offset:         0
        .size:           8
        .value_kind:     global_buffer
      - .offset:         8
        .size:           8
        .value_kind:     by_value
      - .actual_access:  read_only
        .address_space:  global
        .offset:         16
        .size:           8
        .value_kind:     global_buffer
      - .actual_access:  read_only
        .address_space:  global
        .offset:         24
        .size:           8
        .value_kind:     global_buffer
      - .offset:         32
        .size:           8
        .value_kind:     by_value
      - .actual_access:  read_only
        .address_space:  global
        .offset:         40
        .size:           8
        .value_kind:     global_buffer
      - .actual_access:  read_only
        .address_space:  global
        .offset:         48
        .size:           8
        .value_kind:     global_buffer
      - .offset:         56
        .size:           4
        .value_kind:     by_value
      - .actual_access:  read_only
        .address_space:  global
        .offset:         64
        .size:           8
        .value_kind:     global_buffer
      - .actual_access:  read_only
        .address_space:  global
        .offset:         72
        .size:           8
        .value_kind:     global_buffer
      - .address_space:  global
        .offset:         80
        .size:           8
        .value_kind:     global_buffer
    .group_segment_fixed_size: 0
    .kernarg_segment_align: 8
    .kernarg_segment_size: 88
    .language:       OpenCL C
    .language_version:
      - 2
      - 0
    .max_flat_workgroup_size: 238
    .name:           fft_rtc_back_len306_factors_17_2_9_wgs_238_tpt_34_halfLds_half_ip_CI_unitstride_sbrr_R2C_dirReg
    .private_segment_fixed_size: 0
    .sgpr_count:     34
    .sgpr_spill_count: 0
    .symbol:         fft_rtc_back_len306_factors_17_2_9_wgs_238_tpt_34_halfLds_half_ip_CI_unitstride_sbrr_R2C_dirReg.kd
    .uniform_work_group_size: 1
    .uses_dynamic_stack: false
    .vgpr_count:     164
    .vgpr_spill_count: 0
    .wavefront_size: 64
amdhsa.target:   amdgcn-amd-amdhsa--gfx906
amdhsa.version:
  - 1
  - 2
...

	.end_amdgpu_metadata
